;; amdgpu-corpus repo=ROCm/rocFFT kind=compiled arch=gfx1030 opt=O3
	.text
	.amdgcn_target "amdgcn-amd-amdhsa--gfx1030"
	.amdhsa_code_object_version 6
	.protected	fft_rtc_back_len363_factors_11_3_11_wgs_99_tpt_33_halfLds_half_op_CI_CI_sbrr_dirReg ; -- Begin function fft_rtc_back_len363_factors_11_3_11_wgs_99_tpt_33_halfLds_half_op_CI_CI_sbrr_dirReg
	.globl	fft_rtc_back_len363_factors_11_3_11_wgs_99_tpt_33_halfLds_half_op_CI_CI_sbrr_dirReg
	.p2align	8
	.type	fft_rtc_back_len363_factors_11_3_11_wgs_99_tpt_33_halfLds_half_op_CI_CI_sbrr_dirReg,@function
fft_rtc_back_len363_factors_11_3_11_wgs_99_tpt_33_halfLds_half_op_CI_CI_sbrr_dirReg: ; @fft_rtc_back_len363_factors_11_3_11_wgs_99_tpt_33_halfLds_half_op_CI_CI_sbrr_dirReg
; %bb.0:
	s_clause 0x1
	s_load_dwordx4 s[16:19], s[4:5], 0x18
	s_load_dwordx4 s[12:15], s[4:5], 0x0
	v_mul_u32_u24_e32 v1, 0x7c2, v0
	v_mov_b32_e32 v5, 0
	v_mov_b32_e32 v3, 0
	v_mov_b32_e32 v4, 0
	s_load_dwordx4 s[8:11], s[4:5], 0x58
	s_waitcnt lgkmcnt(0)
	s_load_dwordx2 s[20:21], s[16:17], 0x0
	s_load_dwordx2 s[2:3], s[18:19], 0x0
	v_lshrrev_b32_e32 v1, 16, v1
	v_cmp_lt_u64_e64 s0, s[14:15], 2
	v_mov_b32_e32 v9, v4
	v_mov_b32_e32 v8, v3
	v_mad_u64_u32 v[1:2], null, s6, 3, v[1:2]
	v_mov_b32_e32 v2, v5
	s_and_b32 vcc_lo, exec_lo, s0
	v_mov_b32_e32 v11, v2
	v_mov_b32_e32 v10, v1
	s_cbranch_vccnz .LBB0_8
; %bb.1:
	s_load_dwordx2 s[0:1], s[4:5], 0x10
	v_mov_b32_e32 v3, 0
	v_mov_b32_e32 v4, 0
	s_add_u32 s6, s18, 8
	v_mov_b32_e32 v13, v2
	s_addc_u32 s7, s19, 0
	v_mov_b32_e32 v12, v1
	v_mov_b32_e32 v9, v4
	s_add_u32 s22, s16, 8
	v_mov_b32_e32 v8, v3
	s_addc_u32 s23, s17, 0
	s_mov_b64 s[26:27], 1
	s_waitcnt lgkmcnt(0)
	s_add_u32 s24, s0, 8
	s_addc_u32 s25, s1, 0
.LBB0_2:                                ; =>This Inner Loop Header: Depth=1
	s_load_dwordx2 s[28:29], s[24:25], 0x0
                                        ; implicit-def: $vgpr10_vgpr11
	s_mov_b32 s0, exec_lo
	s_waitcnt lgkmcnt(0)
	v_or_b32_e32 v6, s29, v13
	v_cmpx_ne_u64_e32 0, v[5:6]
	s_xor_b32 s1, exec_lo, s0
	s_cbranch_execz .LBB0_4
; %bb.3:                                ;   in Loop: Header=BB0_2 Depth=1
	v_cvt_f32_u32_e32 v2, s28
	v_cvt_f32_u32_e32 v6, s29
	s_sub_u32 s0, 0, s28
	s_subb_u32 s30, 0, s29
	v_fmac_f32_e32 v2, 0x4f800000, v6
	v_rcp_f32_e32 v2, v2
	v_mul_f32_e32 v2, 0x5f7ffffc, v2
	v_mul_f32_e32 v6, 0x2f800000, v2
	v_trunc_f32_e32 v6, v6
	v_fmac_f32_e32 v2, 0xcf800000, v6
	v_cvt_u32_f32_e32 v6, v6
	v_cvt_u32_f32_e32 v2, v2
	v_mul_lo_u32 v7, s0, v6
	v_mul_hi_u32 v10, s0, v2
	v_mul_lo_u32 v11, s30, v2
	v_add_nc_u32_e32 v7, v10, v7
	v_mul_lo_u32 v10, s0, v2
	v_add_nc_u32_e32 v7, v7, v11
	v_mul_hi_u32 v11, v2, v10
	v_mul_lo_u32 v14, v2, v7
	v_mul_hi_u32 v15, v2, v7
	v_mul_hi_u32 v16, v6, v10
	v_mul_lo_u32 v10, v6, v10
	v_mul_hi_u32 v17, v6, v7
	v_mul_lo_u32 v7, v6, v7
	v_add_co_u32 v11, vcc_lo, v11, v14
	v_add_co_ci_u32_e32 v14, vcc_lo, 0, v15, vcc_lo
	v_add_co_u32 v10, vcc_lo, v11, v10
	v_add_co_ci_u32_e32 v10, vcc_lo, v14, v16, vcc_lo
	v_add_co_ci_u32_e32 v11, vcc_lo, 0, v17, vcc_lo
	v_add_co_u32 v7, vcc_lo, v10, v7
	v_add_co_ci_u32_e32 v10, vcc_lo, 0, v11, vcc_lo
	v_add_co_u32 v2, vcc_lo, v2, v7
	v_add_co_ci_u32_e32 v6, vcc_lo, v6, v10, vcc_lo
	v_mul_hi_u32 v7, s0, v2
	v_mul_lo_u32 v11, s30, v2
	v_mul_lo_u32 v10, s0, v6
	v_add_nc_u32_e32 v7, v7, v10
	v_mul_lo_u32 v10, s0, v2
	v_add_nc_u32_e32 v7, v7, v11
	v_mul_hi_u32 v11, v2, v10
	v_mul_lo_u32 v14, v2, v7
	v_mul_hi_u32 v15, v2, v7
	v_mul_hi_u32 v16, v6, v10
	v_mul_lo_u32 v10, v6, v10
	v_mul_hi_u32 v17, v6, v7
	v_mul_lo_u32 v7, v6, v7
	v_add_co_u32 v11, vcc_lo, v11, v14
	v_add_co_ci_u32_e32 v14, vcc_lo, 0, v15, vcc_lo
	v_add_co_u32 v10, vcc_lo, v11, v10
	v_add_co_ci_u32_e32 v10, vcc_lo, v14, v16, vcc_lo
	v_add_co_ci_u32_e32 v11, vcc_lo, 0, v17, vcc_lo
	v_add_co_u32 v7, vcc_lo, v10, v7
	v_add_co_ci_u32_e32 v10, vcc_lo, 0, v11, vcc_lo
	v_add_co_u32 v2, vcc_lo, v2, v7
	v_add_co_ci_u32_e32 v14, vcc_lo, v6, v10, vcc_lo
	v_mul_hi_u32 v16, v12, v2
	v_mad_u64_u32 v[10:11], null, v13, v2, 0
	v_mad_u64_u32 v[6:7], null, v12, v14, 0
	v_mad_u64_u32 v[14:15], null, v13, v14, 0
	v_add_co_u32 v2, vcc_lo, v16, v6
	v_add_co_ci_u32_e32 v6, vcc_lo, 0, v7, vcc_lo
	v_add_co_u32 v2, vcc_lo, v2, v10
	v_add_co_ci_u32_e32 v2, vcc_lo, v6, v11, vcc_lo
	v_add_co_ci_u32_e32 v6, vcc_lo, 0, v15, vcc_lo
	v_add_co_u32 v2, vcc_lo, v2, v14
	v_add_co_ci_u32_e32 v10, vcc_lo, 0, v6, vcc_lo
	v_mul_lo_u32 v11, s29, v2
	v_mad_u64_u32 v[6:7], null, s28, v2, 0
	v_mul_lo_u32 v14, s28, v10
	v_sub_co_u32 v6, vcc_lo, v12, v6
	v_add3_u32 v7, v7, v14, v11
	v_sub_nc_u32_e32 v11, v13, v7
	v_subrev_co_ci_u32_e64 v11, s0, s29, v11, vcc_lo
	v_add_co_u32 v14, s0, v2, 2
	v_add_co_ci_u32_e64 v15, s0, 0, v10, s0
	v_sub_co_u32 v16, s0, v6, s28
	v_sub_co_ci_u32_e32 v7, vcc_lo, v13, v7, vcc_lo
	v_subrev_co_ci_u32_e64 v11, s0, 0, v11, s0
	v_cmp_le_u32_e32 vcc_lo, s28, v16
	v_cmp_eq_u32_e64 s0, s29, v7
	v_cndmask_b32_e64 v16, 0, -1, vcc_lo
	v_cmp_le_u32_e32 vcc_lo, s29, v11
	v_cndmask_b32_e64 v17, 0, -1, vcc_lo
	v_cmp_le_u32_e32 vcc_lo, s28, v6
	;; [unrolled: 2-line block ×3, first 2 shown]
	v_cndmask_b32_e64 v18, 0, -1, vcc_lo
	v_cmp_eq_u32_e32 vcc_lo, s29, v11
	v_cndmask_b32_e64 v6, v18, v6, s0
	v_cndmask_b32_e32 v11, v17, v16, vcc_lo
	v_add_co_u32 v16, vcc_lo, v2, 1
	v_add_co_ci_u32_e32 v17, vcc_lo, 0, v10, vcc_lo
	v_cmp_ne_u32_e32 vcc_lo, 0, v11
	v_cndmask_b32_e32 v7, v17, v15, vcc_lo
	v_cndmask_b32_e32 v14, v16, v14, vcc_lo
	v_cmp_ne_u32_e32 vcc_lo, 0, v6
	v_cndmask_b32_e32 v11, v10, v7, vcc_lo
	v_cndmask_b32_e32 v10, v2, v14, vcc_lo
.LBB0_4:                                ;   in Loop: Header=BB0_2 Depth=1
	s_andn2_saveexec_b32 s0, s1
	s_cbranch_execz .LBB0_6
; %bb.5:                                ;   in Loop: Header=BB0_2 Depth=1
	v_cvt_f32_u32_e32 v2, s28
	s_sub_i32 s1, 0, s28
	v_mov_b32_e32 v11, v5
	v_rcp_iflag_f32_e32 v2, v2
	v_mul_f32_e32 v2, 0x4f7ffffe, v2
	v_cvt_u32_f32_e32 v2, v2
	v_mul_lo_u32 v6, s1, v2
	v_mul_hi_u32 v6, v2, v6
	v_add_nc_u32_e32 v2, v2, v6
	v_mul_hi_u32 v2, v12, v2
	v_mul_lo_u32 v6, v2, s28
	v_add_nc_u32_e32 v7, 1, v2
	v_sub_nc_u32_e32 v6, v12, v6
	v_subrev_nc_u32_e32 v10, s28, v6
	v_cmp_le_u32_e32 vcc_lo, s28, v6
	v_cndmask_b32_e32 v6, v6, v10, vcc_lo
	v_cndmask_b32_e32 v2, v2, v7, vcc_lo
	v_cmp_le_u32_e32 vcc_lo, s28, v6
	v_add_nc_u32_e32 v7, 1, v2
	v_cndmask_b32_e32 v10, v2, v7, vcc_lo
.LBB0_6:                                ;   in Loop: Header=BB0_2 Depth=1
	s_or_b32 exec_lo, exec_lo, s0
	v_mul_lo_u32 v2, v11, s28
	v_mul_lo_u32 v14, v10, s29
	s_load_dwordx2 s[0:1], s[22:23], 0x0
	v_mad_u64_u32 v[6:7], null, v10, s28, 0
	s_load_dwordx2 s[28:29], s[6:7], 0x0
	s_add_u32 s26, s26, 1
	s_addc_u32 s27, s27, 0
	s_add_u32 s6, s6, 8
	s_addc_u32 s7, s7, 0
	s_add_u32 s22, s22, 8
	v_add3_u32 v2, v7, v14, v2
	v_sub_co_u32 v6, vcc_lo, v12, v6
	s_addc_u32 s23, s23, 0
	s_add_u32 s24, s24, 8
	v_sub_co_ci_u32_e32 v2, vcc_lo, v13, v2, vcc_lo
	s_addc_u32 s25, s25, 0
	s_waitcnt lgkmcnt(0)
	v_mul_lo_u32 v7, s0, v2
	v_mul_lo_u32 v12, s1, v6
	v_mad_u64_u32 v[3:4], null, s0, v6, v[3:4]
	v_mul_lo_u32 v2, s28, v2
	v_mul_lo_u32 v13, s29, v6
	v_mad_u64_u32 v[8:9], null, s28, v6, v[8:9]
	v_cmp_ge_u64_e64 s0, s[26:27], s[14:15]
	v_add3_u32 v4, v12, v4, v7
	v_add3_u32 v9, v13, v9, v2
	s_and_b32 vcc_lo, exec_lo, s0
	s_cbranch_vccnz .LBB0_8
; %bb.7:                                ;   in Loop: Header=BB0_2 Depth=1
	v_mov_b32_e32 v13, v11
	v_mov_b32_e32 v12, v10
	s_branch .LBB0_2
.LBB0_8:
	s_load_dwordx2 s[0:1], s[4:5], 0x28
	v_mul_hi_u32 v12, 0x7c1f07d, v0
	s_lshl_b64 s[6:7], s[14:15], 3
                                        ; implicit-def: $sgpr14
                                        ; implicit-def: $vgpr2
                                        ; implicit-def: $vgpr5
                                        ; implicit-def: $vgpr6
                                        ; implicit-def: $vgpr7
	s_add_u32 s4, s18, s6
	s_addc_u32 s5, s19, s7
	s_waitcnt lgkmcnt(0)
	v_cmp_gt_u64_e32 vcc_lo, s[0:1], v[10:11]
	v_cmp_le_u64_e64 s0, s[0:1], v[10:11]
	s_and_saveexec_b32 s1, s0
	s_xor_b32 s0, exec_lo, s1
; %bb.9:
	v_mul_u32_u24_e32 v2, 33, v12
	s_mov_b32 s14, 0
                                        ; implicit-def: $vgpr12
                                        ; implicit-def: $vgpr3_vgpr4
	v_sub_nc_u32_e32 v2, v0, v2
                                        ; implicit-def: $vgpr0
	v_add_nc_u32_e32 v5, 33, v2
	v_add_nc_u32_e32 v6, 0x42, v2
	;; [unrolled: 1-line block ×3, first 2 shown]
; %bb.10:
	s_or_saveexec_b32 s1, s0
	v_mov_b32_e32 v14, s14
	v_mov_b32_e32 v20, s14
                                        ; implicit-def: $vgpr46
                                        ; implicit-def: $vgpr40
                                        ; implicit-def: $vgpr44
                                        ; implicit-def: $vgpr38
                                        ; implicit-def: $vgpr41
                                        ; implicit-def: $vgpr37
                                        ; implicit-def: $vgpr39
                                        ; implicit-def: $vgpr36
                                        ; implicit-def: $vgpr30
                                        ; implicit-def: $vgpr28
                                        ; implicit-def: $vgpr31
                                        ; implicit-def: $vgpr47
                                        ; implicit-def: $vgpr33
                                        ; implicit-def: $vgpr45
                                        ; implicit-def: $vgpr34
                                        ; implicit-def: $vgpr43
                                        ; implicit-def: $vgpr35
                                        ; implicit-def: $vgpr42
                                        ; implicit-def: $vgpr32
                                        ; implicit-def: $vgpr29
	s_xor_b32 exec_lo, exec_lo, s1
	s_cbranch_execz .LBB0_12
; %bb.11:
	s_add_u32 s6, s16, s6
	s_addc_u32 s7, s17, s7
	v_mul_u32_u24_e32 v2, 33, v12
	s_load_dwordx2 s[6:7], s[6:7], 0x0
	v_lshlrev_b64 v[3:4], 2, v[3:4]
	v_sub_nc_u32_e32 v2, v0, v2
	v_mad_u64_u32 v[12:13], null, s20, v2, 0
	v_add_nc_u32_e32 v5, 33, v2
	v_add_nc_u32_e32 v6, 0x42, v2
	;; [unrolled: 1-line block ×5, first 2 shown]
	v_mad_u64_u32 v[14:15], null, s20, v5, 0
	v_mad_u64_u32 v[16:17], null, s20, v6, 0
	s_waitcnt lgkmcnt(0)
	v_mul_lo_u32 v25, s7, v10
	v_mul_lo_u32 v26, s6, v11
	v_mad_u64_u32 v[18:19], null, s6, v10, 0
	v_mov_b32_e32 v0, v13
	v_mov_b32_e32 v13, v17
	v_mad_u64_u32 v[20:21], null, s21, v2, v[0:1]
	v_add3_u32 v19, v19, v26, v25
	v_mov_b32_e32 v0, v15
	v_mad_u64_u32 v[21:22], null, s20, v7, 0
	v_add_nc_u32_e32 v26, 0xa5, v2
	v_lshlrev_b64 v[18:19], 2, v[18:19]
	v_mad_u64_u32 v[23:24], null, s21, v5, v[0:1]
	v_mad_u64_u32 v[24:25], null, s21, v6, v[13:14]
	v_add_nc_u32_e32 v25, 0x84, v2
	v_add_co_u32 v18, s0, s8, v18
	v_add_co_ci_u32_e64 v19, s0, s9, v19, s0
	v_mov_b32_e32 v0, v22
	v_add_co_u32 v39, s0, v18, v3
	v_add_co_ci_u32_e64 v41, s0, v19, v4, s0
	v_mad_u64_u32 v[3:4], null, s20, v25, 0
	v_mad_u64_u32 v[18:19], null, s21, v7, v[0:1]
	v_mov_b32_e32 v13, v20
	v_mad_u64_u32 v[19:20], null, s20, v26, 0
	v_mov_b32_e32 v15, v23
	v_mov_b32_e32 v0, v4
	;; [unrolled: 1-line block ×4, first 2 shown]
	v_add_nc_u32_e32 v18, 0xc6, v2
	v_lshlrev_b64 v[14:15], 2, v[14:15]
	v_mad_u64_u32 v[23:24], null, s21, v25, v[0:1]
	v_mov_b32_e32 v0, v20
	v_lshlrev_b64 v[16:17], 2, v[16:17]
	v_lshlrev_b64 v[20:21], 2, v[21:22]
	v_add_co_u32 v14, s0, v39, v14
	v_add_co_ci_u32_e64 v15, s0, v41, v15, s0
	v_mov_b32_e32 v4, v23
	v_mad_u64_u32 v[22:23], null, s21, v26, v[0:1]
	v_mad_u64_u32 v[23:24], null, s20, v18, 0
	v_add_co_u32 v16, s0, v39, v16
	v_add_co_ci_u32_e64 v17, s0, v41, v17, s0
	v_add_co_u32 v25, s0, v39, v20
	v_mov_b32_e32 v0, v24
	v_add_co_ci_u32_e64 v26, s0, v41, v21, s0
	v_mov_b32_e32 v20, v22
	v_mad_u64_u32 v[21:22], null, s20, v30, 0
	v_mad_u64_u32 v[27:28], null, s21, v18, v[0:1]
	;; [unrolled: 1-line block ×3, first 2 shown]
	v_lshlrev_b64 v[18:19], 2, v[19:20]
	v_add_nc_u32_e32 v20, 0x129, v2
	v_mov_b32_e32 v0, v22
	v_lshlrev_b64 v[3:4], 2, v[3:4]
	v_mov_b32_e32 v24, v27
	v_add_nc_u32_e32 v27, 0x14a, v2
	v_lshlrev_b64 v[12:13], 2, v[12:13]
	v_mad_u64_u32 v[30:31], null, s21, v30, v[0:1]
	v_mov_b32_e32 v0, v29
	v_mad_u64_u32 v[31:32], null, s20, v20, 0
	v_add_co_u32 v3, s0, v39, v3
	v_mad_u64_u32 v[33:34], null, s21, v33, v[0:1]
	v_mad_u64_u32 v[34:35], null, s20, v27, 0
	v_mov_b32_e32 v0, v32
	v_mov_b32_e32 v22, v30
	v_lshlrev_b64 v[23:24], 2, v[23:24]
	v_add_co_ci_u32_e64 v4, s0, v41, v4, s0
	v_mov_b32_e32 v29, v33
	v_mad_u64_u32 v[32:33], null, s21, v20, v[0:1]
	v_mov_b32_e32 v0, v35
	v_add_co_u32 v18, s0, v39, v18
	v_lshlrev_b64 v[20:21], 2, v[21:22]
	v_add_co_ci_u32_e64 v19, s0, v41, v19, s0
	v_add_co_u32 v23, s0, v39, v23
	v_mad_u64_u32 v[35:36], null, s21, v27, v[0:1]
	v_lshlrev_b64 v[27:28], 2, v[28:29]
	v_add_co_ci_u32_e64 v24, s0, v41, v24, s0
	v_add_co_u32 v20, s0, v39, v20
	v_add_co_ci_u32_e64 v21, s0, v41, v21, s0
	v_lshlrev_b64 v[29:30], 2, v[31:32]
	v_add_co_u32 v31, s0, v39, v27
	v_add_co_ci_u32_e64 v32, s0, v41, v28, s0
	v_lshlrev_b64 v[27:28], 2, v[34:35]
	v_add_co_u32 v33, s0, v39, v29
	v_add_co_ci_u32_e64 v34, s0, v41, v30, s0
	v_add_co_u32 v46, s0, v39, v27
	v_add_co_ci_u32_e64 v47, s0, v41, v28, s0
	s_clause 0x9
	global_load_dword v40, v[14:15], off
	global_load_dword v38, v[16:17], off
	global_load_dword v37, v[25:26], off
	global_load_dword v36, v[3:4], off
	global_load_dword v28, v[18:19], off
	global_load_dword v29, v[23:24], off
	global_load_dword v42, v[20:21], off
	global_load_dword v43, v[31:32], off
	global_load_dword v45, v[33:34], off
	global_load_dword v47, v[46:47], off
	v_add_co_u32 v3, s0, v39, v12
	v_add_co_ci_u32_e64 v4, s0, v41, v13, s0
	v_mov_b32_e32 v14, v2
	global_load_dword v20, v[3:4], off
	s_waitcnt vmcnt(10)
	v_lshrrev_b32_e32 v46, 16, v40
	s_waitcnt vmcnt(9)
	v_lshrrev_b32_e32 v44, 16, v38
	;; [unrolled: 2-line block ×10, first 2 shown]
.LBB0_12:
	s_or_b32 exec_lo, exec_lo, s1
	v_add_f16_e32 v4, v40, v47
	v_sub_f16_e32 v12, v46, v31
	v_mul_hi_u32 v3, 0xaaaaaaab, v1
	v_add_f16_e32 v13, v38, v45
	v_sub_f16_e32 v15, v44, v33
	v_mul_f16_e32 v23, 0xbbad, v4
	v_pk_mul_f16 v50, 0xbb47b853, v12 op_sel_hi:[1,0]
	v_add_f16_e32 v16, v37, v43
	v_sub_f16_e32 v17, v41, v34
	v_mul_f16_e32 v25, 0x3abb, v13
	v_pk_mul_f16 v51, 0xba0cbb47, v15 op_sel_hi:[1,0]
	v_lshrrev_b32_e32 v3, 1, v3
	v_fmamk_f16 v48, v12, 0xb482, v23
	v_pk_fma_f16 v56, 0x36a63abb, v4, v50 op_sel_hi:[1,0,1]
	s_waitcnt vmcnt(0)
	v_add_f16_e32 v0, v40, v20
	v_add_f16_e32 v18, v36, v42
	v_sub_f16_e32 v19, v39, v35
	v_mul_f16_e32 v27, 0xb93d, v16
	v_pk_mul_f16 v52, 0x3482bbeb, v17 op_sel_hi:[1,0]
	v_fmamk_f16 v54, v15, 0x3853, v25
	v_lshl_add_u32 v3, v3, 1, v3
	v_add_f16_e32 v48, v48, v20
	v_pk_fma_f16 v57, 0xb93d36a6, v13, v51 op_sel_hi:[1,0,1]
	v_pk_add_f16 v56, v56, v20 op_sel_hi:[1,0]
	v_add_f16_e32 v0, v38, v0
	v_add_f16_e32 v21, v28, v29
	v_sub_f16_e32 v22, v30, v32
	v_mul_f16_e32 v49, 0x36a6, v18
	v_pk_mul_f16 v53, 0x3bebba0c, v19 op_sel_hi:[1,0]
	v_fmamk_f16 v55, v17, 0xba0c, v27
	v_sub_nc_u32_e32 v1, v1, v3
	v_add_f16_e32 v3, v54, v48
	v_pk_fma_f16 v48, 0xbbadb08e, v16, v52 op_sel_hi:[1,0,1]
	v_pk_add_f16 v54, v57, v56
	v_add_f16_e32 v0, v37, v0
	v_mul_f16_e32 v24, 0xb482, v12
	v_mul_u32_u24_e32 v56, 0x16b, v1
	v_add_f16_e32 v1, v55, v3
	v_fmamk_f16 v3, v19, 0x3b47, v49
	v_mul_f16_e32 v55, 0xb08e, v21
	v_pk_add_f16 v48, v48, v54
	v_pk_fma_f16 v54, 0xb08eb93d, v18, v53 op_sel_hi:[1,0,1]
	v_pk_mul_f16 v57, 0x3853b482, v22 op_sel_hi:[1,0]
	v_pk_mul_f16 v58, 0xb93db08e, v4 op_sel_hi:[1,0]
	v_pk_mul_f16 v59, 0xba0cbbeb, v12 op_sel_hi:[1,0]
	v_add_f16_e32 v0, v36, v0
	v_mul_f16_e32 v26, 0x3853, v15
	v_add_f16_e32 v1, v3, v1
	v_fmamk_f16 v3, v22, 0xbbeb, v55
	v_pk_add_f16 v48, v54, v48
	v_pk_fma_f16 v54, 0x3abbbbad, v21, v57 op_sel_hi:[1,0,1]
	v_sub_f16_e32 v60, v58, v59
	v_pk_fma_f16 v12, 0xba0cbbeb, v12, v58 op_sel_hi:[1,0,1]
	v_pk_mul_f16 v61, 0xb08ebbad, v13 op_sel_hi:[1,0]
	v_pk_mul_f16 v62, 0x3beb3482, v15 op_sel_hi:[1,0]
	v_bfi_b32 v23, 0xffff, v23, v58
	v_bfi_b32 v24, 0xffff, v24, v59
	v_add_f16_e32 v0, v28, v0
	v_add_f16_e32 v1, v3, v1
	v_pk_add_f16 v3, v54, v48
	v_add_f16_e32 v48, v60, v20
	v_pk_add_f16 v12, v12, v20 op_sel_hi:[1,0]
	v_sub_f16_e32 v54, v61, v62
	v_pk_fma_f16 v15, 0x3beb3482, v15, v61 op_sel_hi:[1,0,1]
	v_pk_mul_f16 v60, 0x3abb36a6, v16 op_sel_hi:[1,0]
	v_pk_mul_f16 v63, 0xb8533b47, v17 op_sel_hi:[1,0]
	v_mul_f16_e32 v64, 0xba0c, v17
	v_pk_add_f16 v23, v23, v24 neg_lo:[0,1] neg_hi:[0,1]
	v_bfi_b32 v25, 0xffff, v25, v61
	v_bfi_b32 v26, 0xffff, v26, v62
	v_pk_fma_f16 v4, 0x36a63abb, v4, v50 op_sel_hi:[1,0,1] neg_lo:[0,0,1] neg_hi:[0,0,1]
	v_add_f16_e32 v0, v29, v0
	v_add_f16_e32 v48, v54, v48
	v_mul_f16_e32 v54, 0x3b47, v19
	v_pk_add_f16 v12, v15, v12
	v_pk_fma_f16 v17, 0xb8533b47, v17, v60 op_sel_hi:[1,0,1]
	v_pk_mul_f16 v65, 0xbbad3abb, v18 op_sel_hi:[1,0]
	v_pk_mul_f16 v24, 0xb482b853, v19 op_sel_hi:[1,0]
	v_pk_add_f16 v23, v23, v20 op_sel_hi:[1,0]
	v_pk_add_f16 v25, v25, v26 neg_lo:[0,1] neg_hi:[0,1]
	v_bfi_b32 v26, 0xffff, v27, v60
	v_bfi_b32 v27, 0xffff, v64, v63
	v_pk_add_f16 v4, v4, v20 op_sel_hi:[1,0]
	v_pk_fma_f16 v13, 0xb93d36a6, v13, v51 op_sel_hi:[1,0,1] neg_lo:[0,0,1] neg_hi:[0,0,1]
	v_add_f16_e32 v0, v42, v0
	v_mul_f16_e32 v58, 0xbbeb, v22
	v_pk_add_f16 v12, v17, v12
	v_sub_f16_e32 v17, v65, v24
	v_pk_mul_f16 v50, 0x36a6b93d, v21 op_sel_hi:[1,0]
	v_pk_add_f16 v23, v25, v23
	v_pk_add_f16 v25, v26, v27 neg_lo:[0,1] neg_hi:[0,1]
	v_bfi_b32 v26, 0xffff, v49, v65
	v_bfi_b32 v24, 0xffff, v54, v24
	v_pk_mul_f16 v27, 0x3b47ba0c, v22 op_sel_hi:[1,0]
	v_pk_add_f16 v4, v13, v4
	v_pk_fma_f16 v13, 0xbbadb08e, v16, v52 op_sel_hi:[1,0,1] neg_lo:[0,0,1] neg_hi:[0,0,1]
	v_add_f16_e32 v0, v43, v0
	v_sub_f16_e32 v15, v60, v63
	v_pk_fma_f16 v19, 0xb482b853, v19, v65 op_sel_hi:[1,0,1]
	v_pk_add_f16 v16, v25, v23
	v_pk_add_f16 v23, v26, v24 neg_lo:[0,1] neg_hi:[0,1]
	v_bfi_b32 v24, 0xffff, v55, v50
	v_bfi_b32 v25, 0xffff, v58, v27
	v_pk_add_f16 v4, v13, v4
	v_pk_fma_f16 v13, 0xb08eb93d, v18, v53 op_sel_hi:[1,0,1] neg_lo:[0,0,1] neg_hi:[0,0,1]
	v_add_f16_e32 v0, v45, v0
	v_add_f16_e32 v15, v15, v48
	v_pk_add_f16 v12, v19, v12
	v_pk_fma_f16 v18, 0x3b47ba0c, v22, v50 op_sel_hi:[1,0,1]
	v_lshl_add_u32 v59, v56, 1, 0
	v_pk_add_f16 v16, v23, v16
	v_pk_add_f16 v19, v24, v25 neg_lo:[0,1] neg_hi:[0,1]
	v_pk_add_f16 v4, v13, v4
	v_pk_fma_f16 v13, 0x3abbbbad, v21, v57 op_sel_hi:[1,0,1] neg_lo:[0,0,1] neg_hi:[0,0,1]
	v_add_f16_e32 v0, v47, v0
	v_pk_add_f16 v12, v18, v12
	v_add_f16_e32 v15, v17, v15
	v_sub_f16_e32 v17, v50, v27
	v_mad_u32_u24 v48, v2, 22, v59
	v_pk_add_f16 v24, v19, v16
	v_pk_add_f16 v16, v13, v4
	v_alignbit_b32 v23, v1, v12, 16
	v_alignbit_b32 v22, v12, v3, 16
	v_pack_b32_f16 v21, v0, v3
	v_add_f16_e32 v0, v17, v15
	v_lshl_add_u32 v15, v2, 1, v59
	v_mad_i32_i24 v17, 0xffffffec, v2, v48
	v_alignbit_b32 v1, v16, v16, 16
	v_lshl_add_u32 v18, v6, 1, v59
	v_lshl_add_u32 v19, v5, 1, v59
	s_load_dwordx2 s[4:5], s[4:5], 0x0
	ds_write_b128 v48, v[21:24]
	ds_write_b16 v48, v0 offset:16
	ds_write_b32 v48, v1 offset:18
	s_waitcnt lgkmcnt(0)
	s_barrier
	buffer_gl0_inv
	ds_read_u16 v12, v15
	ds_read_u16 v23, v17 offset:242
	ds_read_u16 v22, v17 offset:308
	ds_read_u16 v4, v18
	ds_read_u16 v13, v19
	ds_read_u16 v21, v17 offset:616
	ds_read_u16 v24, v17 offset:550
	;; [unrolled: 1-line block ×4, first 2 shown]
	v_cmp_gt_u32_e64 s0, 22, v2
	v_lshrrev_b32_e32 v3, 16, v16
	v_lshlrev_b32_e32 v1, 1, v7
	v_lshlrev_b32_e32 v0, 1, v56
                                        ; implicit-def: $vgpr26
	s_and_saveexec_b32 s1, s0
	s_cbranch_execz .LBB0_14
; %bb.13:
	v_add3_u32 v3, 0, v1, v0
	ds_read_u16 v16, v17 offset:440
	ds_read_u16 v3, v3
	ds_read_u16 v26, v17 offset:682
.LBB0_14:
	s_or_b32 exec_lo, exec_lo, s1
	v_add_f16_sdwa v49, v46, v20 dst_sel:DWORD dst_unused:UNUSED_PAD src0_sel:DWORD src1_sel:WORD_1
	v_sub_f16_e32 v40, v40, v47
	v_add_f16_e32 v47, v44, v33
	v_sub_f16_e32 v38, v38, v45
	v_add_f16_e32 v45, v41, v34
	v_add_f16_e32 v44, v44, v49
	v_sub_f16_e32 v37, v37, v43
	v_add_f16_e32 v43, v39, v35
	v_add_f16_e32 v46, v46, v31
	v_mul_f16_e32 v50, 0x3853, v38
	v_add_f16_e32 v41, v41, v44
	v_mul_f16_e32 v44, 0xb482, v40
	v_pk_mul_f16 v54, 0xbb47b853, v40 op_sel_hi:[1,0]
	v_pk_mul_f16 v55, 0xba0cbb47, v38 op_sel_hi:[1,0]
	v_fma_f16 v59, v47, 0x3abb, -v50
	v_add_f16_e32 v39, v39, v41
	v_fma_f16 v57, v46, 0xbbad, -v44
	v_pk_fma_f16 v61, 0x36a63abb, v46, v54 op_sel_hi:[1,0,1] neg_lo:[0,0,1] neg_hi:[0,0,1]
	v_pk_mul_f16 v56, 0x3482bbeb, v37 op_sel_hi:[1,0]
	v_pk_fma_f16 v62, 0xb93d36a6, v47, v55 op_sel_hi:[1,0,1] neg_lo:[0,0,1] neg_hi:[0,0,1]
	v_add_f16_e32 v39, v30, v39
	v_add_f16_sdwa v57, v57, v20 dst_sel:DWORD dst_unused:UNUSED_PAD src0_sel:DWORD src1_sel:WORD_1
	v_pk_fma_f16 v54, 0x36a63abb, v46, v54 op_sel_hi:[1,0,1]
	v_sub_f16_e32 v36, v36, v42
	v_mul_f16_e32 v51, 0xba0c, v37
	v_add_f16_e32 v39, v32, v39
	v_add_f16_e32 v57, v59, v57
	v_pk_add_f16 v59, v61, v20 op_sel:[0,1]
	v_pk_add_f16 v54, v54, v20 op_sel:[0,1]
	v_pk_mul_f16 v40, 0xba0cbbeb, v40 op_sel_hi:[1,0]
	v_add_f16_e32 v35, v35, v39
	v_mul_f16_e32 v42, 0xbbad, v46
	v_mul_f16_e32 v53, 0x3b47, v36
	v_pk_mul_f16 v58, 0x3bebba0c, v36 op_sel_hi:[1,0]
	v_fma_f16 v60, v45, 0xb93d, -v51
	v_add_f16_e32 v34, v34, v35
	v_pk_fma_f16 v35, 0xbbadb08e, v45, v56 op_sel_hi:[1,0,1] neg_lo:[0,0,1] neg_hi:[0,0,1]
	v_add_f16_e32 v30, v30, v32
	v_sub_f16_e32 v28, v28, v29
	v_pk_mul_f16 v38, 0x3beb3482, v38 op_sel_hi:[1,0]
	v_add_f16_e32 v33, v33, v34
	v_pk_fma_f16 v34, 0xb93d36a6, v47, v55 op_sel_hi:[1,0,1]
	v_pk_add_f16 v55, v62, v59
	v_mul_f16_e32 v49, 0x3abb, v47
	v_fma_f16 v39, v43, 0x36a6, -v53
	v_add_f16_e32 v57, v60, v57
	v_pk_add_f16 v32, v34, v54
	v_pk_add_f16 v29, v35, v55
	v_pk_fma_f16 v34, 0xbbadb08e, v45, v56 op_sel_hi:[1,0,1]
	v_pk_mul_f16 v35, 0xb93db08e, v46 op_sel_hi:[1,0]
	v_pk_fma_f16 v46, 0xb93db08e, v46, v40 op_sel_hi:[1,0,1] neg_lo:[0,0,1] neg_hi:[0,0,1]
	v_pk_mul_f16 v55, 0xb08ebbad, v47 op_sel_hi:[1,0]
	v_pk_mul_f16 v37, 0xb8533b47, v37 op_sel_hi:[1,0]
	v_pk_add_f16 v32, v34, v32
	v_pk_fma_f16 v34, 0xb08eb93d, v43, v58 op_sel_hi:[1,0,1]
	v_add_f16_e32 v54, v35, v40
	v_pk_add_f16 v46, v46, v20 op_sel:[0,1]
	v_pk_fma_f16 v47, 0xb08ebbad, v47, v38 op_sel_hi:[1,0,1] neg_lo:[0,0,1] neg_hi:[0,0,1]
	v_bfi_b32 v35, 0xffff, v42, v35
	v_bfi_b32 v40, 0xffff, v44, v40
	v_mul_f16_e32 v41, 0xb93d, v45
	v_add_f16_e32 v39, v39, v57
	v_pk_add_f16 v32, v34, v32
	v_add_f16_sdwa v34, v54, v20 dst_sel:DWORD dst_unused:UNUSED_PAD src0_sel:DWORD src1_sel:WORD_1
	v_add_f16_e32 v54, v55, v38
	v_pk_mul_f16 v57, 0x3abb36a6, v45 op_sel_hi:[1,0]
	v_pk_mul_f16 v36, 0xb482b853, v36 op_sel_hi:[1,0]
	v_pk_add_f16 v42, v47, v46
	v_pk_fma_f16 v44, 0x3abb36a6, v45, v37 op_sel_hi:[1,0,1] neg_lo:[0,0,1] neg_hi:[0,0,1]
	v_pk_add_f16 v35, v35, v40
	v_bfi_b32 v40, 0xffff, v49, v55
	v_bfi_b32 v38, 0xffff, v50, v38
	v_mul_f16_e32 v52, 0x36a6, v43
	v_add_f16_e32 v33, v31, v33
	v_pk_fma_f16 v31, 0xb08eb93d, v43, v58 op_sel_hi:[1,0,1] neg_lo:[0,0,1] neg_hi:[0,0,1]
	v_add_f16_e32 v34, v54, v34
	v_add_f16_e32 v54, v57, v37
	v_pk_mul_f16 v58, 0xbbad3abb, v43 op_sel_hi:[1,0]
	v_pk_add_f16 v42, v44, v42
	v_pk_fma_f16 v43, 0xbbad3abb, v43, v36 op_sel_hi:[1,0,1] neg_lo:[0,0,1] neg_hi:[0,0,1]
	v_pk_add_f16 v20, v35, v20 op_sel:[0,1]
	v_pk_add_f16 v35, v40, v38
	v_bfi_b32 v38, 0xffff, v41, v57
	v_bfi_b32 v37, 0xffff, v51, v37
	v_pk_add_f16 v29, v31, v29
	v_pk_mul_f16 v31, 0x3853b482, v28 op_sel_hi:[1,0]
	v_add_f16_e32 v45, v58, v36
	v_pk_add_f16 v40, v43, v42
	v_pk_mul_f16 v41, 0x36a6b93d, v30 op_sel_hi:[1,0]
	v_pk_mul_f16 v42, 0x3b47ba0c, v28 op_sel_hi:[1,0]
	v_pk_add_f16 v20, v35, v20
	v_pk_add_f16 v35, v38, v37
	v_bfi_b32 v37, 0xffff, v52, v58
	v_bfi_b32 v36, 0xffff, v53, v36
	v_mul_f16_e32 v38, 0xb08e, v30
	v_mul_f16_e32 v28, 0xbbeb, v28
	v_pk_fma_f16 v56, 0x3abbbbad, v30, v31 op_sel_hi:[1,0,1] neg_lo:[0,0,1] neg_hi:[0,0,1]
	v_add_f16_e32 v34, v54, v34
	v_pk_fma_f16 v43, 0x36a6b93d, v30, v42 op_sel_hi:[1,0,1] neg_lo:[0,0,1] neg_hi:[0,0,1]
	v_pk_add_f16 v20, v35, v20
	v_pk_add_f16 v35, v37, v36
	v_bfi_b32 v36, 0xffff, v38, v41
	v_bfi_b32 v37, 0xffff, v28, v42
	v_fma_f16 v28, v30, 0xb08e, -v28
	v_pk_fma_f16 v31, 0x3abbbbad, v30, v31 op_sel_hi:[1,0,1]
	v_add_f16_e32 v34, v45, v34
	v_add_f16_e32 v30, v41, v42
	v_pk_add_f16 v38, v43, v40
	v_pk_add_f16 v35, v35, v20
	;; [unrolled: 1-line block ×3, first 2 shown]
	v_add_f16_e32 v28, v28, v39
	v_pk_add_f16 v37, v56, v29
	v_pk_add_f16 v20, v31, v32
	v_add_f16_e32 v32, v30, v34
	v_pk_add_f16 v31, v36, v35
	v_alignbit_b32 v30, v28, v38, 16
	v_alignbit_b32 v29, v38, v37, 16
	v_pack_b32_f16 v28, v33, v37
	v_alignbit_b32 v33, v20, v20, 16
	s_waitcnt lgkmcnt(0)
	s_barrier
	buffer_gl0_inv
	ds_write_b128 v48, v[28:31]
	ds_write_b16 v48, v32 offset:16
	ds_write_b32 v48, v33 offset:18
	s_waitcnt lgkmcnt(0)
	s_barrier
	buffer_gl0_inv
	ds_read_u16 v32, v15
	ds_read_u16 v35, v17 offset:242
	ds_read_u16 v30, v17 offset:308
	;; [unrolled: 1-line block ×3, first 2 shown]
	ds_read_u16 v33, v18
	ds_read_u16 v34, v19
	ds_read_u16 v29, v17 offset:616
	ds_read_u16 v38, v17 offset:484
	;; [unrolled: 1-line block ×3, first 2 shown]
	v_lshrrev_b32_e32 v31, 16, v20
                                        ; implicit-def: $vgpr37
	s_and_saveexec_b32 s1, s0
	s_cbranch_execz .LBB0_16
; %bb.15:
	v_add3_u32 v31, 0, v1, v0
	ds_read_u16 v20, v17 offset:440
	ds_read_u16 v31, v31
	ds_read_u16 v37, v17 offset:682
.LBB0_16:
	s_or_b32 exec_lo, exec_lo, s1
	v_and_b32_e32 v39, 0xff, v2
	v_and_b32_e32 v40, 0xff, v5
	;; [unrolled: 1-line block ×4, first 2 shown]
	v_mov_b32_e32 v48, 1
	v_mul_lo_u16 v39, 0x75, v39
	v_mul_lo_u16 v40, 0x75, v40
	;; [unrolled: 1-line block ×4, first 2 shown]
	v_lshrrev_b16 v39, 8, v39
	v_lshrrev_b16 v40, 8, v40
	v_lshrrev_b16 v41, 8, v41
	v_lshrrev_b16 v42, 8, v42
	v_sub_nc_u16 v43, v2, v39
	v_sub_nc_u16 v44, v5, v40
	;; [unrolled: 1-line block ×4, first 2 shown]
	v_lshrrev_b16 v43, 1, v43
	v_lshrrev_b16 v44, 1, v44
	;; [unrolled: 1-line block ×3, first 2 shown]
	v_and_b32_e32 v43, 0x7f, v43
	v_and_b32_e32 v44, 0x7f, v44
	;; [unrolled: 1-line block ×3, first 2 shown]
	v_add_nc_u16 v39, v43, v39
	v_lshrrev_b16 v43, 1, v46
	v_add_nc_u16 v40, v44, v40
	v_add_nc_u16 v41, v45, v41
	v_mov_b32_e32 v45, 3
	v_lshrrev_b16 v39, 3, v39
	v_and_b32_e32 v43, 0x7f, v43
	v_lshrrev_b16 v40, 3, v40
	v_lshrrev_b16 v41, 3, v41
	v_mul_lo_u16 v44, v39, 11
	v_add_nc_u16 v42, v43, v42
	v_mul_lo_u16 v43, v40, 11
	v_mul_lo_u16 v46, v41, 11
	v_sub_nc_u16 v44, v2, v44
	v_lshrrev_b16 v42, 3, v42
	v_sub_nc_u16 v43, v5, v43
	v_sub_nc_u16 v46, v6, v46
	v_lshlrev_b32_sdwa v5, v45, v44 dst_sel:DWORD dst_unused:UNUSED_PAD src0_sel:DWORD src1_sel:BYTE_0
	v_mul_lo_u16 v47, v42, 11
	v_lshlrev_b32_sdwa v6, v45, v43 dst_sel:DWORD dst_unused:UNUSED_PAD src0_sel:DWORD src1_sel:BYTE_0
	v_lshlrev_b32_sdwa v43, v48, v43 dst_sel:DWORD dst_unused:UNUSED_PAD src0_sel:DWORD src1_sel:BYTE_0
	s_clause 0x1
	global_load_dwordx2 v[51:52], v5, s[12:13]
	global_load_dwordx2 v[53:54], v6, s[12:13]
	v_sub_nc_u16 v5, v7, v47
	v_lshlrev_b32_sdwa v7, v45, v46 dst_sel:DWORD dst_unused:UNUSED_PAD src0_sel:DWORD src1_sel:BYTE_0
	v_lshlrev_b32_sdwa v6, v45, v5 dst_sel:DWORD dst_unused:UNUSED_PAD src0_sel:DWORD src1_sel:BYTE_0
	s_clause 0x1
	global_load_dwordx2 v[55:56], v7, s[12:13]
	global_load_dwordx2 v[57:58], v6, s[12:13]
	v_and_b32_e32 v7, 0xffff, v39
	v_and_b32_e32 v39, 0xffff, v40
	;; [unrolled: 1-line block ×3, first 2 shown]
	v_lshlrev_b32_sdwa v41, v48, v44 dst_sel:DWORD dst_unused:UNUSED_PAD src0_sel:DWORD src1_sel:BYTE_0
	v_lshlrev_b32_sdwa v44, v48, v46 dst_sel:DWORD dst_unused:UNUSED_PAD src0_sel:DWORD src1_sel:BYTE_0
	v_mad_u32_u24 v7, 0x42, v7, 0
	v_mad_u32_u24 v39, 0x42, v39, 0
	;; [unrolled: 1-line block ×3, first 2 shown]
	v_and_b32_e32 v6, 0xffff, v42
	s_waitcnt vmcnt(0) lgkmcnt(0)
	v_add3_u32 v42, v7, v41, v0
	v_add3_u32 v41, v39, v43, v0
	;; [unrolled: 1-line block ×3, first 2 shown]
	s_barrier
	buffer_gl0_inv
	v_mul_f16_sdwa v49, v35, v51 dst_sel:DWORD dst_unused:UNUSED_PAD src0_sel:DWORD src1_sel:WORD_1
	v_mul_f16_sdwa v50, v38, v52 dst_sel:DWORD dst_unused:UNUSED_PAD src0_sel:DWORD src1_sel:WORD_1
	;; [unrolled: 1-line block ×6, first 2 shown]
	v_fmac_f16_e32 v49, v23, v51
	v_fmac_f16_e32 v50, v27, v52
	v_mul_f16_sdwa v60, v22, v53 dst_sel:DWORD dst_unused:UNUSED_PAD src0_sel:DWORD src1_sel:WORD_1
	v_mul_f16_sdwa v61, v24, v54 dst_sel:DWORD dst_unused:UNUSED_PAD src0_sel:DWORD src1_sel:WORD_1
	v_fmac_f16_e32 v46, v22, v53
	v_mul_f16_sdwa v43, v36, v55 dst_sel:DWORD dst_unused:UNUSED_PAD src0_sel:DWORD src1_sel:WORD_1
	v_mul_f16_sdwa v44, v29, v56 dst_sel:DWORD dst_unused:UNUSED_PAD src0_sel:DWORD src1_sel:WORD_1
	;; [unrolled: 1-line block ×4, first 2 shown]
	v_fmac_f16_e32 v47, v24, v54
	v_mul_f16_sdwa v63, v21, v56 dst_sel:DWORD dst_unused:UNUSED_PAD src0_sel:DWORD src1_sel:WORD_1
	v_mul_f16_sdwa v7, v20, v57 dst_sel:DWORD dst_unused:UNUSED_PAD src0_sel:DWORD src1_sel:WORD_1
	v_fmac_f16_e32 v43, v25, v55
	v_fmac_f16_e32 v44, v21, v56
	v_fma_f16 v51, v35, v51, -v45
	v_fma_f16 v23, v38, v52, -v59
	;; [unrolled: 1-line block ×4, first 2 shown]
	v_add_f16_e32 v20, v49, v50
	v_mul_f16_sdwa v39, v37, v58 dst_sel:DWORD dst_unused:UNUSED_PAD src0_sel:DWORD src1_sel:WORD_1
	v_fma_f16 v27, v30, v53, -v60
	v_fma_f16 v38, v28, v54, -v61
	v_add_f16_e32 v25, v46, v47
	v_mul_f16_sdwa v65, v26, v58 dst_sel:DWORD dst_unused:UNUSED_PAD src0_sel:DWORD src1_sel:WORD_1
	v_fma_f16 v45, v29, v56, -v63
	v_fmac_f16_e32 v7, v16, v57
	v_add_f16_e32 v16, v12, v49
	v_add_f16_e32 v29, v43, v44
	v_sub_f16_e32 v21, v51, v23
	v_fmac_f16_e32 v12, -0.5, v20
	v_add_f16_e32 v24, v13, v46
	v_fmac_f16_e32 v39, v26, v58
	v_sub_f16_e32 v26, v27, v38
	v_fmac_f16_e32 v13, -0.5, v25
	v_fma_f16 v35, v37, v58, -v65
	v_add_f16_e32 v28, v4, v43
	v_sub_f16_e32 v30, v22, v45
	v_add_f16_e32 v16, v16, v50
	v_fmac_f16_e32 v4, -0.5, v29
	v_fmamk_f16 v25, v21, 0xbaee, v12
	v_fmac_f16_e32 v12, 0x3aee, v21
	v_add_f16_e32 v20, v24, v47
	v_fmamk_f16 v21, v26, 0xbaee, v13
	v_add_f16_e32 v24, v28, v44
	v_fmac_f16_e32 v13, 0x3aee, v26
	v_fmamk_f16 v26, v30, 0xbaee, v4
	v_fmac_f16_e32 v4, 0x3aee, v30
	ds_write_b16 v42, v16
	ds_write_b16 v42, v25 offset:22
	ds_write_b16 v42, v12 offset:44
	ds_write_b16 v41, v20
	ds_write_b16 v41, v21 offset:22
	ds_write_b16 v41, v13 offset:44
	;; [unrolled: 3-line block ×3, first 2 shown]
	s_and_saveexec_b32 s1, s0
	s_cbranch_execz .LBB0_18
; %bb.17:
	v_add_f16_e32 v4, v7, v39
	v_add_f16_e32 v13, v3, v7
	v_mad_u32_u24 v16, 0x42, v6, 0
	v_lshlrev_b32_sdwa v20, v48, v5 dst_sel:DWORD dst_unused:UNUSED_PAD src0_sel:DWORD src1_sel:BYTE_0
	v_sub_f16_e32 v12, v36, v35
	v_fma_f16 v3, -0.5, v4, v3
	v_add_f16_e32 v4, v13, v39
	v_add3_u32 v13, v16, v20, v0
	v_fmamk_f16 v16, v12, 0x3aee, v3
	v_fmac_f16_e32 v3, 0xbaee, v12
	ds_write_b16 v13, v4
	ds_write_b16 v13, v3 offset:22
	ds_write_b16 v13, v16 offset:44
.LBB0_18:
	s_or_b32 exec_lo, exec_lo, s1
	v_add_f16_e32 v3, v51, v23
	v_add_f16_e32 v4, v32, v51
	;; [unrolled: 1-line block ×3, first 2 shown]
	v_add3_u32 v30, 0, v1, v0
	v_add_f16_e32 v13, v27, v38
	v_fmac_f16_e32 v32, -0.5, v3
	v_add_f16_e32 v3, v34, v27
	v_add_f16_e32 v4, v4, v23
	;; [unrolled: 1-line block ×3, first 2 shown]
	v_fmac_f16_e32 v33, -0.5, v16
	s_waitcnt lgkmcnt(0)
	s_barrier
	buffer_gl0_inv
	ds_read_u16 v27, v19
	ds_read_u16 v25, v18
	;; [unrolled: 1-line block ×4, first 2 shown]
	ds_read_u16 v22, v17 offset:264
	ds_read_u16 v20, v17 offset:330
	;; [unrolled: 1-line block ×7, first 2 shown]
	v_sub_f16_e32 v12, v49, v50
	v_fmac_f16_e32 v34, -0.5, v13
	v_sub_f16_e32 v1, v43, v44
	v_add_f16_e32 v3, v3, v38
	s_waitcnt lgkmcnt(0)
	v_fmamk_f16 v13, v12, 0x3aee, v32
	v_fmac_f16_e32 v32, 0xbaee, v12
	v_sub_f16_e32 v12, v46, v47
	s_barrier
	buffer_gl0_inv
	v_fmamk_f16 v38, v12, 0x3aee, v34
	v_fmac_f16_e32 v34, 0xbaee, v12
	v_add_f16_e32 v12, v37, v45
	v_fmamk_f16 v37, v1, 0x3aee, v33
	v_fmac_f16_e32 v33, 0xbaee, v1
	ds_write_b16 v42, v4
	ds_write_b16 v42, v13 offset:22
	ds_write_b16 v42, v32 offset:44
	ds_write_b16 v41, v3
	ds_write_b16 v41, v38 offset:22
	ds_write_b16 v41, v34 offset:44
	;; [unrolled: 3-line block ×3, first 2 shown]
	s_and_saveexec_b32 s1, s0
	s_cbranch_execz .LBB0_20
; %bb.19:
	v_mov_b32_e32 v1, 1
	v_add_f16_e32 v3, v36, v35
	v_add_f16_e32 v4, v31, v36
	v_mad_u32_u24 v6, 0x42, v6, 0
	v_sub_f16_e32 v7, v7, v39
	v_lshlrev_b32_sdwa v1, v1, v5 dst_sel:DWORD dst_unused:UNUSED_PAD src0_sel:DWORD src1_sel:BYTE_0
	v_fmac_f16_e32 v31, -0.5, v3
	v_add_f16_e32 v3, v4, v35
	v_add3_u32 v0, v6, v1, v0
	v_fmamk_f16 v1, v7, 0x3aee, v31
	v_fmamk_f16 v4, v7, 0xbaee, v31
	ds_write_b16 v0, v3
	ds_write_b16 v0, v1 offset:22
	ds_write_b16 v0, v4 offset:44
.LBB0_20:
	s_or_b32 exec_lo, exec_lo, s1
	s_waitcnt lgkmcnt(0)
	s_barrier
	buffer_gl0_inv
	s_and_saveexec_b32 s0, vcc_lo
	s_cbranch_execz .LBB0_22
; %bb.21:
	v_mul_u32_u24_e32 v0, 10, v2
	v_mad_u64_u32 v[31:32], null, s2, v14, 0
	v_mul_lo_u32 v35, s5, v10
	v_mul_lo_u32 v37, s4, v11
	v_lshlrev_b32_e32 v4, 2, v0
	v_mad_u64_u32 v[33:34], null, s4, v10, 0
	v_add_nc_u32_e32 v36, 33, v14
	v_lshlrev_b64 v[8:9], 2, v[8:9]
	s_clause 0x2
	global_load_dwordx2 v[12:13], v4, s[12:13] offset:120
	global_load_dwordx4 v[0:3], v4, s[12:13] offset:88
	global_load_dwordx4 v[4:7], v4, s[12:13] offset:104
	ds_read_u16 v38, v19
	ds_read_u16 v39, v18
	;; [unrolled: 1-line block ×3, first 2 shown]
	v_mov_b32_e32 v18, v32
	v_mad_u64_u32 v[10:11], null, s2, v36, 0
	v_add3_u32 v34, v34, v37, v35
	ds_read_u16 v30, v17 offset:660
	ds_read_u16 v41, v17 offset:594
	;; [unrolled: 1-line block ×6, first 2 shown]
	v_mad_u64_u32 v[18:19], null, s3, v14, v[18:19]
	ds_read_u16 v37, v17 offset:264
	ds_read_u16 v46, v15
	v_lshlrev_b64 v[33:34], 2, v[33:34]
	v_mov_b32_e32 v32, v18
	v_lshlrev_b64 v[18:19], 2, v[31:32]
	s_waitcnt vmcnt(2)
	v_mad_u64_u32 v[35:36], null, s3, v36, v[11:12]
	v_add_co_u32 v11, vcc_lo, s10, v33
	v_add_co_ci_u32_e32 v17, vcc_lo, s11, v34, vcc_lo
	s_waitcnt vmcnt(1)
	v_mul_f16_sdwa v36, v27, v0 dst_sel:DWORD dst_unused:UNUSED_PAD src0_sel:DWORD src1_sel:WORD_1
	v_add_co_u32 v15, vcc_lo, v11, v8
	v_add_co_ci_u32_e32 v17, vcc_lo, v17, v9, vcc_lo
	v_mov_b32_e32 v11, v35
	v_mul_f16_sdwa v35, v29, v13 dst_sel:DWORD dst_unused:UNUSED_PAD src0_sel:DWORD src1_sel:WORD_1
	s_waitcnt lgkmcnt(10)
	v_mul_f16_sdwa v47, v38, v0 dst_sel:DWORD dst_unused:UNUSED_PAD src0_sel:DWORD src1_sel:WORD_1
	v_add_co_u32 v8, vcc_lo, v15, v18
	v_add_co_ci_u32_e32 v9, vcc_lo, v17, v19, vcc_lo
	s_waitcnt lgkmcnt(7)
	v_mul_f16_sdwa v18, v30, v13 dst_sel:DWORD dst_unused:UNUSED_PAD src0_sel:DWORD src1_sel:WORD_1
	v_mul_f16_sdwa v48, v28, v12 dst_sel:DWORD dst_unused:UNUSED_PAD src0_sel:DWORD src1_sel:WORD_1
	;; [unrolled: 1-line block ×4, first 2 shown]
	s_waitcnt lgkmcnt(6)
	v_mul_f16_sdwa v19, v41, v12 dst_sel:DWORD dst_unused:UNUSED_PAD src0_sel:DWORD src1_sel:WORD_1
	s_waitcnt lgkmcnt(1)
	v_mul_f16_sdwa v56, v37, v3 dst_sel:DWORD dst_unused:UNUSED_PAD src0_sel:DWORD src1_sel:WORD_1
	s_waitcnt vmcnt(0)
	v_mul_f16_sdwa v58, v20, v4 dst_sel:DWORD dst_unused:UNUSED_PAD src0_sel:DWORD src1_sel:WORD_1
	v_mul_f16_sdwa v34, v45, v4 dst_sel:DWORD dst_unused:UNUSED_PAD src0_sel:DWORD src1_sel:WORD_1
	v_fma_f16 v30, v30, v13, -v35
	v_fma_f16 v35, v38, v0, -v36
	v_fmac_f16_e32 v47, v27, v0
	v_mul_f16_sdwa v51, v26, v7 dst_sel:DWORD dst_unused:UNUSED_PAD src0_sel:DWORD src1_sel:WORD_1
	v_mul_f16_sdwa v52, v23, v2 dst_sel:DWORD dst_unused:UNUSED_PAD src0_sel:DWORD src1_sel:WORD_1
	;; [unrolled: 1-line block ×7, first 2 shown]
	v_fmac_f16_e32 v18, v29, v13
	v_fma_f16 v0, v41, v12, -v48
	v_fma_f16 v13, v39, v1, -v49
	v_fmac_f16_e32 v50, v25, v1
	v_fmac_f16_e32 v19, v28, v12
	;; [unrolled: 1-line block ×3, first 2 shown]
	v_fma_f16 v22, v45, v4, -v58
	v_fmac_f16_e32 v34, v20, v4
	v_add_f16_e32 v4, v30, v35
	v_sub_f16_e32 v28, v35, v30
	s_waitcnt lgkmcnt(0)
	v_add_f16_e32 v35, v46, v35
	v_add_f16_e32 v36, v16, v47
	v_mul_f16_sdwa v33, v44, v5 dst_sel:DWORD dst_unused:UNUSED_PAD src0_sel:DWORD src1_sel:WORD_1
	v_fma_f16 v1, v42, v7, -v51
	v_fma_f16 v12, v40, v2, -v52
	v_fmac_f16_e32 v53, v23, v2
	v_fmac_f16_e32 v31, v26, v7
	v_fma_f16 v2, v43, v6, -v54
	v_fma_f16 v7, v37, v3, -v55
	v_fmac_f16_e32 v32, v24, v6
	v_add_f16_e32 v6, v0, v13
	v_sub_f16_e32 v37, v13, v0
	v_add_f16_e32 v13, v35, v13
	v_add_f16_e32 v35, v36, v50
	v_mul_f16_sdwa v57, v21, v5 dst_sel:DWORD dst_unused:UNUSED_PAD src0_sel:DWORD src1_sel:WORD_1
	v_fmac_f16_e32 v33, v21, v5
	v_add_f16_e32 v21, v1, v12
	v_sub_f16_e32 v39, v12, v1
	v_add_f16_e32 v12, v13, v12
	v_add_f16_e32 v13, v35, v53
	v_fma_f16 v3, v44, v5, -v57
	v_sub_f16_e32 v5, v47, v18
	v_mul_f16_e32 v45, 0xbbad, v4
	v_add_f16_e32 v12, v12, v7
	v_add_f16_e32 v13, v13, v56
	;; [unrolled: 1-line block ×5, first 2 shown]
	v_mul_f16_e32 v47, 0x3abb, v6
	v_mul_f16_e32 v52, 0xb93d, v4
	;; [unrolled: 1-line block ×14, first 2 shown]
	v_add_f16_e32 v13, v13, v34
	v_add_f16_e32 v12, v12, v22
	v_sub_f16_e32 v20, v50, v19
	v_fmamk_f16 v87, v5, 0x3482, v45
	v_fmac_f16_e32 v45, 0xb482, v5
	v_sub_f16_e32 v41, v7, v2
	v_sub_f16_e32 v43, v22, v3
	;; [unrolled: 1-line block ×5, first 2 shown]
	v_add_f16_e32 v38, v19, v50
	v_mul_f16_e32 v48, 0xb93d, v21
	v_mul_f16_e32 v49, 0x36a6, v24
	;; [unrolled: 1-line block ×20, first 2 shown]
	v_fmamk_f16 v91, v5, 0x3a0c, v52
	v_fmamk_f16 v95, v5, 0x3beb, v59
	;; [unrolled: 1-line block ×4, first 2 shown]
	v_fmac_f16_e32 v52, 0xba0c, v5
	v_fmac_f16_e32 v59, 0xbbeb, v5
	;; [unrolled: 1-line block ×4, first 2 shown]
	v_fmamk_f16 v5, v29, 0xbbad, v6
	v_fma_f16 v6, v29, 0xbbad, -v6
	v_fmamk_f16 v111, v29, 0x3abb, v28
	v_add_f16_e32 v13, v33, v13
	v_add_f16_e32 v3, v3, v12
	v_fmamk_f16 v88, v20, 0xb853, v47
	v_fmac_f16_e32 v47, 0x3853, v20
	v_add_f16_e32 v45, v46, v45
	v_add_f16_e32 v40, v31, v53
	;; [unrolled: 1-line block ×4, first 2 shown]
	v_mul_f16_e32 v75, 0xba0c, v39
	v_mul_f16_e32 v76, 0xb853, v39
	;; [unrolled: 1-line block ×15, first 2 shown]
	v_fmamk_f16 v89, v23, 0x3a0c, v48
	v_fmamk_f16 v90, v25, 0xbb47, v49
	;; [unrolled: 1-line block ×12, first 2 shown]
	v_fmac_f16_e32 v54, 0x3beb, v20
	v_fmac_f16_e32 v60, 0x3482, v20
	v_fmac_f16_e32 v65, 0xba0c, v20
	v_fmac_f16_e32 v69, 0xbb47, v20
	v_fmamk_f16 v20, v23, 0x3beb, v21
	v_fmac_f16_e32 v48, 0xba0c, v23
	v_fmac_f16_e32 v55, 0xb853, v23
	v_fmac_f16_e32 v61, 0x3b47, v23
	v_fmac_f16_e32 v66, 0x3482, v23
	v_fmac_f16_e32 v21, 0xbbeb, v23
	v_fmamk_f16 v23, v25, 0x3a0c, v24
	v_fmac_f16_e32 v49, 0x3b47, v25
	;; [unrolled: 6-line block ×3, first 2 shown]
	v_fmamk_f16 v105, v27, 0xbb47, v58
	v_fmac_f16_e32 v58, 0x3b47, v27
	v_fmamk_f16 v106, v27, 0x3a0c, v63
	v_fmac_f16_e32 v63, 0xba0c, v27
	;; [unrolled: 2-line block ×4, first 2 shown]
	v_fmamk_f16 v27, v29, 0xb93d, v70
	v_fma_f16 v70, v29, 0xb93d, -v70
	v_fmamk_f16 v109, v29, 0xb08e, v71
	v_fma_f16 v71, v29, 0xb08e, -v71
	;; [unrolled: 2-line block ×3, first 2 shown]
	v_fma_f16 v28, v29, 0x3abb, -v28
	v_fmamk_f16 v29, v38, 0x3abb, v36
	v_fma_f16 v36, v38, 0x3abb, -v36
	v_fmamk_f16 v115, v38, 0x36a6, v37
	v_add_f16_e32 v7, v46, v87
	v_add_f16_e32 v56, v46, v91
	;; [unrolled: 1-line block ×15, first 2 shown]
	v_fmamk_f16 v112, v38, 0xb08e, v50
	v_fma_f16 v50, v38, 0xb08e, -v50
	v_fmamk_f16 v113, v38, 0xbbad, v73
	v_fma_f16 v73, v38, 0xbbad, -v73
	;; [unrolled: 2-line block ×3, first 2 shown]
	v_fma_f16 v37, v38, 0x36a6, -v37
	v_fmamk_f16 v35, v40, 0xb93d, v75
	v_fma_f16 v38, v40, 0xb93d, -v75
	v_fmamk_f16 v53, v40, 0x3abb, v76
	;; [unrolled: 2-line block ×15, first 2 shown]
	v_fma_f16 v43, v44, 0xbbad, -v43
	v_add_nc_u32_e32 v44, 0x42, v14
	v_add_nc_u32_e32 v99, 0x63, v14
	v_add_f16_e32 v27, v16, v27
	v_add_f16_e32 v109, v16, v109
	;; [unrolled: 1-line block ×19, first 2 shown]
	v_mad_u64_u32 v[4:5], null, s2, v44, 0
	v_mad_u64_u32 v[6:7], null, s2, v99, 0
	v_add_f16_e32 v47, v59, v60
	v_add_f16_e32 v16, v16, v37
	;; [unrolled: 1-line block ×14, first 2 shown]
	v_add_nc_u32_e32 v88, 0x84, v14
	v_add_f16_e32 v28, v28, v90
	v_add_f16_e32 v29, v29, v40
	;; [unrolled: 1-line block ×10, first 2 shown]
	v_lshlrev_b64 v[10:11], 2, v[10:11]
	v_add_f16_e32 v31, v3, v51
	v_mad_u64_u32 v[2:3], null, s3, v44, v[5:6]
	v_add_f16_e32 v24, v28, v25
	v_add_f16_e32 v25, v29, v42
	;; [unrolled: 1-line block ×8, first 2 shown]
	v_pack_b32_f16 v26, v1, v0
	v_mad_u64_u32 v[0:1], null, s2, v88, 0
	v_mad_u64_u32 v[12:13], null, s3, v99, v[7:8]
	v_add_co_u32 v10, vcc_lo, v15, v10
	v_add_f16_e32 v27, v27, v112
	v_add_f16_e32 v92, v109, v113
	;; [unrolled: 1-line block ×3, first 2 shown]
	v_add_co_ci_u32_e32 v11, vcc_lo, v17, v11, vcc_lo
	v_pack_b32_f16 v3, v23, v20
	v_mov_b32_e32 v5, v2
	v_mov_b32_e32 v7, v12
	v_mad_u64_u32 v[1:2], null, s3, v88, v[1:2]
	v_add_f16_e32 v27, v27, v53
	v_add_f16_e32 v53, v92, v76
	;; [unrolled: 1-line block ×3, first 2 shown]
	global_store_dword v[8:9], v26, off
	global_store_dword v[10:11], v3, off
	v_lshlrev_b64 v[2:3], 2, v[4:5]
	v_add_nc_u32_e32 v8, 0xa5, v14
	v_lshlrev_b64 v[4:5], 2, v[6:7]
	v_add_f16_e32 v16, v16, v39
	v_add_f16_e32 v35, v35, v94
	;; [unrolled: 1-line block ×5, first 2 shown]
	v_mad_u64_u32 v[6:7], null, s2, v8, 0
	v_add_co_u32 v2, vcc_lo, v15, v2
	v_lshlrev_b64 v[0:1], 2, v[0:1]
	v_add_co_ci_u32_e32 v3, vcc_lo, v17, v3, vcc_lo
	v_add_f16_e32 v28, v35, v105
	v_add_f16_e32 v27, v27, v122
	;; [unrolled: 1-line block ×4, first 2 shown]
	v_add_co_u32 v4, vcc_lo, v15, v4
	v_add_co_ci_u32_e32 v5, vcc_lo, v17, v5, vcc_lo
	v_add_co_u32 v0, vcc_lo, v15, v0
	v_pack_b32_f16 v9, v39, v37
	v_mad_u64_u32 v[7:8], null, s3, v8, v[7:8]
	v_add_co_ci_u32_e32 v1, vcc_lo, v17, v1, vcc_lo
	v_pack_b32_f16 v10, v27, v28
	v_pack_b32_f16 v8, v35, v29
	global_store_dword v[2:3], v9, off
	global_store_dword v[4:5], v8, off
	v_add_nc_u32_e32 v8, 0xc6, v14
	global_store_dword v[0:1], v10, off
	v_add_nc_u32_e32 v10, 0xe7, v14
	v_add_nc_u32_e32 v12, 0x108, v14
	v_lshlrev_b64 v[0:1], 2, v[6:7]
	v_mad_u64_u32 v[2:3], null, s2, v8, 0
	v_mad_u64_u32 v[4:5], null, s2, v10, 0
	;; [unrolled: 1-line block ×3, first 2 shown]
	v_add_nc_u32_e32 v20, 0x129, v14
	v_add_co_u32 v0, vcc_lo, v15, v0
	v_add_co_ci_u32_e32 v1, vcc_lo, v17, v1, vcc_lo
	v_mad_u64_u32 v[8:9], null, s3, v8, v[3:4]
	v_mad_u64_u32 v[9:10], null, s3, v10, v[5:6]
	v_mov_b32_e32 v5, v7
	v_mad_u64_u32 v[10:11], null, s2, v20, 0
	v_pack_b32_f16 v13, v25, v24
	v_mov_b32_e32 v3, v8
	v_mad_u64_u32 v[7:8], null, s3, v12, v[5:6]
	v_add_nc_u32_e32 v12, 0x14a, v14
	v_mov_b32_e32 v5, v9
	global_store_dword v[0:1], v13, off
	v_lshlrev_b64 v[0:1], 2, v[2:3]
	v_mov_b32_e32 v2, v11
	v_mad_u64_u32 v[8:9], null, s2, v12, 0
	v_lshlrev_b64 v[4:5], 2, v[4:5]
	v_add_f16_e32 v36, v52, v54
	v_mad_u64_u32 v[2:3], null, s3, v20, v[2:3]
	v_add_f16_e32 v45, v70, v50
	v_add_f16_e32 v50, v71, v73
	v_mov_b32_e32 v3, v9
	v_add_f16_e32 v52, v64, v65
	v_add_f16_e32 v54, v72, v74
	;; [unrolled: 1-line block ×4, first 2 shown]
	v_mad_u64_u32 v[12:13], null, s3, v12, v[3:4]
	v_add_f16_e32 v36, v47, v61
	v_add_f16_e32 v38, v50, v77
	;; [unrolled: 1-line block ×4, first 2 shown]
	v_add_co_u32 v0, vcc_lo, v15, v0
	v_mov_b32_e32 v11, v2
	v_add_co_ci_u32_e32 v1, vcc_lo, v17, v1, vcc_lo
	v_lshlrev_b64 v[6:7], 2, v[6:7]
	v_add_f16_e32 v22, v33, v57
	v_add_f16_e32 v32, v34, v80
	v_add_co_u32 v2, vcc_lo, v15, v4
	v_mov_b32_e32 v9, v12
	v_add_f16_e32 v33, v36, v62
	v_add_f16_e32 v34, v38, v81
	;; [unrolled: 1-line block ×4, first 2 shown]
	v_add_co_ci_u32_e32 v3, vcc_lo, v17, v5, vcc_lo
	v_lshlrev_b64 v[4:5], 2, v[10:11]
	v_add_f16_e32 v16, v16, v41
	v_add_f16_e32 v22, v22, v58
	;; [unrolled: 1-line block ×3, first 2 shown]
	v_add_co_u32 v6, vcc_lo, v15, v6
	v_lshlrev_b64 v[8:9], 2, v[8:9]
	v_add_f16_e32 v32, v33, v63
	v_add_f16_e32 v33, v34, v85
	;; [unrolled: 1-line block ×4, first 2 shown]
	v_add_co_ci_u32_e32 v7, vcc_lo, v17, v7, vcc_lo
	v_add_f16_e32 v16, v16, v43
	v_add_co_u32 v4, vcc_lo, v15, v4
	v_pack_b32_f16 v14, v40, v31
	v_pack_b32_f16 v13, v19, v22
	v_add_co_ci_u32_e32 v5, vcc_lo, v17, v5, vcc_lo
	v_pack_b32_f16 v10, v33, v32
	v_add_co_u32 v8, vcc_lo, v15, v8
	v_pack_b32_f16 v11, v30, v18
	v_add_co_ci_u32_e32 v9, vcc_lo, v17, v9, vcc_lo
	v_pack_b32_f16 v12, v16, v21
	global_store_dword v[0:1], v14, off
	global_store_dword v[2:3], v13, off
	;; [unrolled: 1-line block ×5, first 2 shown]
.LBB0_22:
	s_endpgm
	.section	.rodata,"a",@progbits
	.p2align	6, 0x0
	.amdhsa_kernel fft_rtc_back_len363_factors_11_3_11_wgs_99_tpt_33_halfLds_half_op_CI_CI_sbrr_dirReg
		.amdhsa_group_segment_fixed_size 0
		.amdhsa_private_segment_fixed_size 0
		.amdhsa_kernarg_size 104
		.amdhsa_user_sgpr_count 6
		.amdhsa_user_sgpr_private_segment_buffer 1
		.amdhsa_user_sgpr_dispatch_ptr 0
		.amdhsa_user_sgpr_queue_ptr 0
		.amdhsa_user_sgpr_kernarg_segment_ptr 1
		.amdhsa_user_sgpr_dispatch_id 0
		.amdhsa_user_sgpr_flat_scratch_init 0
		.amdhsa_user_sgpr_private_segment_size 0
		.amdhsa_wavefront_size32 1
		.amdhsa_uses_dynamic_stack 0
		.amdhsa_system_sgpr_private_segment_wavefront_offset 0
		.amdhsa_system_sgpr_workgroup_id_x 1
		.amdhsa_system_sgpr_workgroup_id_y 0
		.amdhsa_system_sgpr_workgroup_id_z 0
		.amdhsa_system_sgpr_workgroup_info 0
		.amdhsa_system_vgpr_workitem_id 0
		.amdhsa_next_free_vgpr 127
		.amdhsa_next_free_sgpr 31
		.amdhsa_reserve_vcc 1
		.amdhsa_reserve_flat_scratch 0
		.amdhsa_float_round_mode_32 0
		.amdhsa_float_round_mode_16_64 0
		.amdhsa_float_denorm_mode_32 3
		.amdhsa_float_denorm_mode_16_64 3
		.amdhsa_dx10_clamp 1
		.amdhsa_ieee_mode 1
		.amdhsa_fp16_overflow 0
		.amdhsa_workgroup_processor_mode 1
		.amdhsa_memory_ordered 1
		.amdhsa_forward_progress 0
		.amdhsa_shared_vgpr_count 0
		.amdhsa_exception_fp_ieee_invalid_op 0
		.amdhsa_exception_fp_denorm_src 0
		.amdhsa_exception_fp_ieee_div_zero 0
		.amdhsa_exception_fp_ieee_overflow 0
		.amdhsa_exception_fp_ieee_underflow 0
		.amdhsa_exception_fp_ieee_inexact 0
		.amdhsa_exception_int_div_zero 0
	.end_amdhsa_kernel
	.text
.Lfunc_end0:
	.size	fft_rtc_back_len363_factors_11_3_11_wgs_99_tpt_33_halfLds_half_op_CI_CI_sbrr_dirReg, .Lfunc_end0-fft_rtc_back_len363_factors_11_3_11_wgs_99_tpt_33_halfLds_half_op_CI_CI_sbrr_dirReg
                                        ; -- End function
	.section	.AMDGPU.csdata,"",@progbits
; Kernel info:
; codeLenInByte = 9120
; NumSgprs: 33
; NumVgprs: 127
; ScratchSize: 0
; MemoryBound: 0
; FloatMode: 240
; IeeeMode: 1
; LDSByteSize: 0 bytes/workgroup (compile time only)
; SGPRBlocks: 4
; VGPRBlocks: 15
; NumSGPRsForWavesPerEU: 33
; NumVGPRsForWavesPerEU: 127
; Occupancy: 8
; WaveLimiterHint : 1
; COMPUTE_PGM_RSRC2:SCRATCH_EN: 0
; COMPUTE_PGM_RSRC2:USER_SGPR: 6
; COMPUTE_PGM_RSRC2:TRAP_HANDLER: 0
; COMPUTE_PGM_RSRC2:TGID_X_EN: 1
; COMPUTE_PGM_RSRC2:TGID_Y_EN: 0
; COMPUTE_PGM_RSRC2:TGID_Z_EN: 0
; COMPUTE_PGM_RSRC2:TIDIG_COMP_CNT: 0
	.text
	.p2alignl 6, 3214868480
	.fill 48, 4, 3214868480
	.type	__hip_cuid_1588ce01d57e6944,@object ; @__hip_cuid_1588ce01d57e6944
	.section	.bss,"aw",@nobits
	.globl	__hip_cuid_1588ce01d57e6944
__hip_cuid_1588ce01d57e6944:
	.byte	0                               ; 0x0
	.size	__hip_cuid_1588ce01d57e6944, 1

	.ident	"AMD clang version 19.0.0git (https://github.com/RadeonOpenCompute/llvm-project roc-6.4.0 25133 c7fe45cf4b819c5991fe208aaa96edf142730f1d)"
	.section	".note.GNU-stack","",@progbits
	.addrsig
	.addrsig_sym __hip_cuid_1588ce01d57e6944
	.amdgpu_metadata
---
amdhsa.kernels:
  - .args:
      - .actual_access:  read_only
        .address_space:  global
        .offset:         0
        .size:           8
        .value_kind:     global_buffer
      - .offset:         8
        .size:           8
        .value_kind:     by_value
      - .actual_access:  read_only
        .address_space:  global
        .offset:         16
        .size:           8
        .value_kind:     global_buffer
      - .actual_access:  read_only
        .address_space:  global
        .offset:         24
        .size:           8
        .value_kind:     global_buffer
      - .actual_access:  read_only
        .address_space:  global
        .offset:         32
        .size:           8
        .value_kind:     global_buffer
      - .offset:         40
        .size:           8
        .value_kind:     by_value
      - .actual_access:  read_only
        .address_space:  global
        .offset:         48
        .size:           8
        .value_kind:     global_buffer
      - .actual_access:  read_only
        .address_space:  global
        .offset:         56
        .size:           8
        .value_kind:     global_buffer
      - .offset:         64
        .size:           4
        .value_kind:     by_value
      - .actual_access:  read_only
        .address_space:  global
        .offset:         72
        .size:           8
        .value_kind:     global_buffer
      - .actual_access:  read_only
        .address_space:  global
        .offset:         80
        .size:           8
        .value_kind:     global_buffer
      - .actual_access:  read_only
        .address_space:  global
        .offset:         88
        .size:           8
        .value_kind:     global_buffer
      - .actual_access:  write_only
        .address_space:  global
        .offset:         96
        .size:           8
        .value_kind:     global_buffer
    .group_segment_fixed_size: 0
    .kernarg_segment_align: 8
    .kernarg_segment_size: 104
    .language:       OpenCL C
    .language_version:
      - 2
      - 0
    .max_flat_workgroup_size: 99
    .name:           fft_rtc_back_len363_factors_11_3_11_wgs_99_tpt_33_halfLds_half_op_CI_CI_sbrr_dirReg
    .private_segment_fixed_size: 0
    .sgpr_count:     33
    .sgpr_spill_count: 0
    .symbol:         fft_rtc_back_len363_factors_11_3_11_wgs_99_tpt_33_halfLds_half_op_CI_CI_sbrr_dirReg.kd
    .uniform_work_group_size: 1
    .uses_dynamic_stack: false
    .vgpr_count:     127
    .vgpr_spill_count: 0
    .wavefront_size: 32
    .workgroup_processor_mode: 1
amdhsa.target:   amdgcn-amd-amdhsa--gfx1030
amdhsa.version:
  - 1
  - 2
...

	.end_amdgpu_metadata
